;; amdgpu-corpus repo=ROCm/rocFFT kind=compiled arch=gfx1201 opt=O3
	.text
	.amdgcn_target "amdgcn-amd-amdhsa--gfx1201"
	.amdhsa_code_object_version 6
	.protected	fft_rtc_back_len2400_factors_4_10_10_6_wgs_240_tpt_240_halfLds_sp_op_CI_CI_unitstride_sbrr_dirReg ; -- Begin function fft_rtc_back_len2400_factors_4_10_10_6_wgs_240_tpt_240_halfLds_sp_op_CI_CI_unitstride_sbrr_dirReg
	.globl	fft_rtc_back_len2400_factors_4_10_10_6_wgs_240_tpt_240_halfLds_sp_op_CI_CI_unitstride_sbrr_dirReg
	.p2align	8
	.type	fft_rtc_back_len2400_factors_4_10_10_6_wgs_240_tpt_240_halfLds_sp_op_CI_CI_unitstride_sbrr_dirReg,@function
fft_rtc_back_len2400_factors_4_10_10_6_wgs_240_tpt_240_halfLds_sp_op_CI_CI_unitstride_sbrr_dirReg: ; @fft_rtc_back_len2400_factors_4_10_10_6_wgs_240_tpt_240_halfLds_sp_op_CI_CI_unitstride_sbrr_dirReg
; %bb.0:
	s_clause 0x2
	s_load_b128 s[4:7], s[0:1], 0x0
	s_load_b128 s[8:11], s[0:1], 0x58
	;; [unrolled: 1-line block ×3, first 2 shown]
	v_mul_u32_u24_e32 v1, 0x112, v0
	v_mov_b32_e32 v7, 0
	v_mov_b32_e32 v5, 0
	;; [unrolled: 1-line block ×3, first 2 shown]
	s_delay_alu instid0(VALU_DEP_4) | instskip(NEXT) | instid1(VALU_DEP_1)
	v_lshrrev_b32_e32 v1, 16, v1
	v_dual_mov_b32 v10, v7 :: v_dual_add_nc_u32 v9, ttmp9, v1
	s_wait_kmcnt 0x0
	v_cmp_lt_u64_e64 s2, s[6:7], 2
	s_delay_alu instid0(VALU_DEP_1)
	s_and_b32 vcc_lo, exec_lo, s2
	s_cbranch_vccnz .LBB0_8
; %bb.1:
	s_load_b64 s[2:3], s[0:1], 0x10
	v_mov_b32_e32 v5, 0
	v_mov_b32_e32 v6, 0
	s_delay_alu instid0(VALU_DEP_2)
	v_mov_b32_e32 v1, v5
	s_add_nc_u64 s[16:17], s[14:15], 8
	s_add_nc_u64 s[18:19], s[12:13], 8
	s_mov_b64 s[20:21], 1
	v_mov_b32_e32 v2, v6
	s_wait_kmcnt 0x0
	s_add_nc_u64 s[22:23], s[2:3], 8
	s_mov_b32 s3, 0
.LBB0_2:                                ; =>This Inner Loop Header: Depth=1
	s_load_b64 s[24:25], s[22:23], 0x0
                                        ; implicit-def: $vgpr3_vgpr4
	s_mov_b32 s2, exec_lo
	s_wait_kmcnt 0x0
	v_or_b32_e32 v8, s25, v10
	s_delay_alu instid0(VALU_DEP_1)
	v_cmpx_ne_u64_e32 0, v[7:8]
	s_wait_alu 0xfffe
	s_xor_b32 s26, exec_lo, s2
	s_cbranch_execz .LBB0_4
; %bb.3:                                ;   in Loop: Header=BB0_2 Depth=1
	s_cvt_f32_u32 s2, s24
	s_cvt_f32_u32 s27, s25
	s_sub_nc_u64 s[30:31], 0, s[24:25]
	s_wait_alu 0xfffe
	s_delay_alu instid0(SALU_CYCLE_1) | instskip(SKIP_1) | instid1(SALU_CYCLE_2)
	s_fmamk_f32 s2, s27, 0x4f800000, s2
	s_wait_alu 0xfffe
	v_s_rcp_f32 s2, s2
	s_delay_alu instid0(TRANS32_DEP_1) | instskip(SKIP_1) | instid1(SALU_CYCLE_2)
	s_mul_f32 s2, s2, 0x5f7ffffc
	s_wait_alu 0xfffe
	s_mul_f32 s27, s2, 0x2f800000
	s_wait_alu 0xfffe
	s_delay_alu instid0(SALU_CYCLE_2) | instskip(SKIP_1) | instid1(SALU_CYCLE_2)
	s_trunc_f32 s27, s27
	s_wait_alu 0xfffe
	s_fmamk_f32 s2, s27, 0xcf800000, s2
	s_cvt_u32_f32 s29, s27
	s_wait_alu 0xfffe
	s_delay_alu instid0(SALU_CYCLE_1) | instskip(SKIP_1) | instid1(SALU_CYCLE_2)
	s_cvt_u32_f32 s28, s2
	s_wait_alu 0xfffe
	s_mul_u64 s[34:35], s[30:31], s[28:29]
	s_wait_alu 0xfffe
	s_mul_hi_u32 s37, s28, s35
	s_mul_i32 s36, s28, s35
	s_mul_hi_u32 s2, s28, s34
	s_mul_i32 s33, s29, s34
	s_wait_alu 0xfffe
	s_add_nc_u64 s[36:37], s[2:3], s[36:37]
	s_mul_hi_u32 s27, s29, s34
	s_mul_hi_u32 s38, s29, s35
	s_add_co_u32 s2, s36, s33
	s_wait_alu 0xfffe
	s_add_co_ci_u32 s2, s37, s27
	s_mul_i32 s34, s29, s35
	s_add_co_ci_u32 s35, s38, 0
	s_wait_alu 0xfffe
	s_add_nc_u64 s[34:35], s[2:3], s[34:35]
	s_wait_alu 0xfffe
	v_add_co_u32 v3, s2, s28, s34
	s_delay_alu instid0(VALU_DEP_1) | instskip(SKIP_1) | instid1(VALU_DEP_1)
	s_cmp_lg_u32 s2, 0
	s_add_co_ci_u32 s29, s29, s35
	v_readfirstlane_b32 s28, v3
	s_wait_alu 0xfffe
	s_delay_alu instid0(VALU_DEP_1)
	s_mul_u64 s[30:31], s[30:31], s[28:29]
	s_wait_alu 0xfffe
	s_mul_hi_u32 s35, s28, s31
	s_mul_i32 s34, s28, s31
	s_mul_hi_u32 s2, s28, s30
	s_mul_i32 s33, s29, s30
	s_wait_alu 0xfffe
	s_add_nc_u64 s[34:35], s[2:3], s[34:35]
	s_mul_hi_u32 s27, s29, s30
	s_mul_hi_u32 s28, s29, s31
	s_wait_alu 0xfffe
	s_add_co_u32 s2, s34, s33
	s_add_co_ci_u32 s2, s35, s27
	s_mul_i32 s30, s29, s31
	s_add_co_ci_u32 s31, s28, 0
	s_wait_alu 0xfffe
	s_add_nc_u64 s[30:31], s[2:3], s[30:31]
	s_wait_alu 0xfffe
	v_add_co_u32 v8, s2, v3, s30
	s_delay_alu instid0(VALU_DEP_1) | instskip(SKIP_1) | instid1(VALU_DEP_1)
	s_cmp_lg_u32 s2, 0
	s_add_co_ci_u32 s2, s29, s31
	v_mul_hi_u32 v15, v9, v8
	s_wait_alu 0xfffe
	v_mad_co_u64_u32 v[3:4], null, v9, s2, 0
	v_mad_co_u64_u32 v[11:12], null, v10, v8, 0
	;; [unrolled: 1-line block ×3, first 2 shown]
	s_delay_alu instid0(VALU_DEP_3) | instskip(SKIP_1) | instid1(VALU_DEP_4)
	v_add_co_u32 v3, vcc_lo, v15, v3
	s_wait_alu 0xfffd
	v_add_co_ci_u32_e32 v4, vcc_lo, 0, v4, vcc_lo
	s_delay_alu instid0(VALU_DEP_2) | instskip(SKIP_1) | instid1(VALU_DEP_2)
	v_add_co_u32 v3, vcc_lo, v3, v11
	s_wait_alu 0xfffd
	v_add_co_ci_u32_e32 v3, vcc_lo, v4, v12, vcc_lo
	s_wait_alu 0xfffd
	v_add_co_ci_u32_e32 v4, vcc_lo, 0, v14, vcc_lo
	s_delay_alu instid0(VALU_DEP_2) | instskip(SKIP_1) | instid1(VALU_DEP_2)
	v_add_co_u32 v8, vcc_lo, v3, v13
	s_wait_alu 0xfffd
	v_add_co_ci_u32_e32 v11, vcc_lo, 0, v4, vcc_lo
	s_delay_alu instid0(VALU_DEP_2) | instskip(SKIP_1) | instid1(VALU_DEP_3)
	v_mul_lo_u32 v12, s25, v8
	v_mad_co_u64_u32 v[3:4], null, s24, v8, 0
	v_mul_lo_u32 v13, s24, v11
	s_delay_alu instid0(VALU_DEP_2) | instskip(NEXT) | instid1(VALU_DEP_2)
	v_sub_co_u32 v3, vcc_lo, v9, v3
	v_add3_u32 v4, v4, v13, v12
	s_delay_alu instid0(VALU_DEP_1) | instskip(SKIP_1) | instid1(VALU_DEP_1)
	v_sub_nc_u32_e32 v12, v10, v4
	s_wait_alu 0xfffd
	v_subrev_co_ci_u32_e64 v12, s2, s25, v12, vcc_lo
	v_add_co_u32 v13, s2, v8, 2
	s_wait_alu 0xf1ff
	v_add_co_ci_u32_e64 v14, s2, 0, v11, s2
	v_sub_co_u32 v15, s2, v3, s24
	v_sub_co_ci_u32_e32 v4, vcc_lo, v10, v4, vcc_lo
	s_wait_alu 0xf1ff
	v_subrev_co_ci_u32_e64 v12, s2, 0, v12, s2
	s_delay_alu instid0(VALU_DEP_3) | instskip(NEXT) | instid1(VALU_DEP_3)
	v_cmp_le_u32_e32 vcc_lo, s24, v15
	v_cmp_eq_u32_e64 s2, s25, v4
	s_wait_alu 0xfffd
	v_cndmask_b32_e64 v15, 0, -1, vcc_lo
	v_cmp_le_u32_e32 vcc_lo, s25, v12
	s_wait_alu 0xfffd
	v_cndmask_b32_e64 v16, 0, -1, vcc_lo
	v_cmp_le_u32_e32 vcc_lo, s24, v3
	;; [unrolled: 3-line block ×3, first 2 shown]
	s_wait_alu 0xfffd
	v_cndmask_b32_e64 v17, 0, -1, vcc_lo
	v_cmp_eq_u32_e32 vcc_lo, s25, v12
	s_wait_alu 0xf1ff
	s_delay_alu instid0(VALU_DEP_2)
	v_cndmask_b32_e64 v3, v17, v3, s2
	s_wait_alu 0xfffd
	v_cndmask_b32_e32 v12, v16, v15, vcc_lo
	v_add_co_u32 v15, vcc_lo, v8, 1
	s_wait_alu 0xfffd
	v_add_co_ci_u32_e32 v16, vcc_lo, 0, v11, vcc_lo
	s_delay_alu instid0(VALU_DEP_3) | instskip(SKIP_1) | instid1(VALU_DEP_2)
	v_cmp_ne_u32_e32 vcc_lo, 0, v12
	s_wait_alu 0xfffd
	v_cndmask_b32_e32 v4, v16, v14, vcc_lo
	v_cndmask_b32_e32 v12, v15, v13, vcc_lo
	v_cmp_ne_u32_e32 vcc_lo, 0, v3
	s_wait_alu 0xfffd
	s_delay_alu instid0(VALU_DEP_3) | instskip(NEXT) | instid1(VALU_DEP_3)
	v_cndmask_b32_e32 v4, v11, v4, vcc_lo
	v_cndmask_b32_e32 v3, v8, v12, vcc_lo
.LBB0_4:                                ;   in Loop: Header=BB0_2 Depth=1
	s_wait_alu 0xfffe
	s_and_not1_saveexec_b32 s2, s26
	s_cbranch_execz .LBB0_6
; %bb.5:                                ;   in Loop: Header=BB0_2 Depth=1
	v_cvt_f32_u32_e32 v3, s24
	s_sub_co_i32 s26, 0, s24
	s_delay_alu instid0(VALU_DEP_1) | instskip(NEXT) | instid1(TRANS32_DEP_1)
	v_rcp_iflag_f32_e32 v3, v3
	v_mul_f32_e32 v3, 0x4f7ffffe, v3
	s_delay_alu instid0(VALU_DEP_1) | instskip(SKIP_1) | instid1(VALU_DEP_1)
	v_cvt_u32_f32_e32 v3, v3
	s_wait_alu 0xfffe
	v_mul_lo_u32 v4, s26, v3
	s_delay_alu instid0(VALU_DEP_1) | instskip(NEXT) | instid1(VALU_DEP_1)
	v_mul_hi_u32 v4, v3, v4
	v_add_nc_u32_e32 v3, v3, v4
	s_delay_alu instid0(VALU_DEP_1) | instskip(NEXT) | instid1(VALU_DEP_1)
	v_mul_hi_u32 v3, v9, v3
	v_mul_lo_u32 v4, v3, s24
	v_add_nc_u32_e32 v8, 1, v3
	s_delay_alu instid0(VALU_DEP_2) | instskip(NEXT) | instid1(VALU_DEP_1)
	v_sub_nc_u32_e32 v4, v9, v4
	v_subrev_nc_u32_e32 v11, s24, v4
	v_cmp_le_u32_e32 vcc_lo, s24, v4
	s_wait_alu 0xfffd
	s_delay_alu instid0(VALU_DEP_2) | instskip(NEXT) | instid1(VALU_DEP_1)
	v_dual_cndmask_b32 v4, v4, v11 :: v_dual_cndmask_b32 v3, v3, v8
	v_cmp_le_u32_e32 vcc_lo, s24, v4
	s_delay_alu instid0(VALU_DEP_2) | instskip(SKIP_2) | instid1(VALU_DEP_2)
	v_add_nc_u32_e32 v8, 1, v3
	v_mov_b32_e32 v4, v7
	s_wait_alu 0xfffd
	v_cndmask_b32_e32 v3, v3, v8, vcc_lo
.LBB0_6:                                ;   in Loop: Header=BB0_2 Depth=1
	s_wait_alu 0xfffe
	s_or_b32 exec_lo, exec_lo, s2
	v_mul_lo_u32 v8, v4, s24
	s_delay_alu instid0(VALU_DEP_2)
	v_mul_lo_u32 v13, v3, s25
	s_load_b64 s[26:27], s[18:19], 0x0
	v_mad_co_u64_u32 v[11:12], null, v3, s24, 0
	s_load_b64 s[24:25], s[16:17], 0x0
	s_add_nc_u64 s[20:21], s[20:21], 1
	s_add_nc_u64 s[16:17], s[16:17], 8
	s_wait_alu 0xfffe
	v_cmp_ge_u64_e64 s2, s[20:21], s[6:7]
	s_add_nc_u64 s[18:19], s[18:19], 8
	s_add_nc_u64 s[22:23], s[22:23], 8
	v_add3_u32 v8, v12, v13, v8
	v_sub_co_u32 v9, vcc_lo, v9, v11
	s_wait_alu 0xfffd
	s_delay_alu instid0(VALU_DEP_2) | instskip(SKIP_2) | instid1(VALU_DEP_1)
	v_sub_co_ci_u32_e32 v8, vcc_lo, v10, v8, vcc_lo
	s_and_b32 vcc_lo, exec_lo, s2
	s_wait_kmcnt 0x0
	v_mul_lo_u32 v10, s26, v8
	v_mul_lo_u32 v11, s27, v9
	v_mad_co_u64_u32 v[5:6], null, s26, v9, v[5:6]
	v_mul_lo_u32 v8, s24, v8
	v_mul_lo_u32 v12, s25, v9
	v_mad_co_u64_u32 v[1:2], null, s24, v9, v[1:2]
	s_delay_alu instid0(VALU_DEP_4) | instskip(NEXT) | instid1(VALU_DEP_2)
	v_add3_u32 v6, v11, v6, v10
	v_add3_u32 v2, v12, v2, v8
	s_wait_alu 0xfffe
	s_cbranch_vccnz .LBB0_9
; %bb.7:                                ;   in Loop: Header=BB0_2 Depth=1
	v_dual_mov_b32 v10, v4 :: v_dual_mov_b32 v9, v3
	s_branch .LBB0_2
.LBB0_8:
	v_dual_mov_b32 v1, v5 :: v_dual_mov_b32 v2, v6
	v_dual_mov_b32 v3, v9 :: v_dual_mov_b32 v4, v10
.LBB0_9:
	s_load_b64 s[0:1], s[0:1], 0x28
	v_mul_hi_u32 v9, 0x1111112, v0
	s_lshl_b64 s[6:7], s[6:7], 3
                                        ; implicit-def: $vgpr32
	s_wait_alu 0xfffe
	s_add_nc_u64 s[2:3], s[14:15], s[6:7]
                                        ; implicit-def: $sgpr14
	s_wait_kmcnt 0x0
	v_cmp_gt_u64_e32 vcc_lo, s[0:1], v[3:4]
	v_cmp_le_u64_e64 s0, s[0:1], v[3:4]
	s_delay_alu instid0(VALU_DEP_1)
	s_and_saveexec_b32 s1, s0
	s_wait_alu 0xfffe
	s_xor_b32 s0, exec_lo, s1
; %bb.10:
	v_mul_u32_u24_e32 v5, 0xf0, v9
	s_mov_b32 s14, 0
                                        ; implicit-def: $vgpr9
	s_delay_alu instid0(VALU_DEP_1)
	v_sub_nc_u32_e32 v32, v0, v5
                                        ; implicit-def: $vgpr0
                                        ; implicit-def: $vgpr5_vgpr6
; %bb.11:
	s_wait_alu 0xfffe
	s_or_saveexec_b32 s1, s0
	s_load_b64 s[2:3], s[2:3], 0x0
	v_dual_mov_b32 v8, s14 :: v_dual_mov_b32 v7, s14
	v_dual_mov_b32 v19, s14 :: v_dual_mov_b32 v18, s14
                                        ; implicit-def: $vgpr10
                                        ; implicit-def: $vgpr14
                                        ; implicit-def: $vgpr21
                                        ; implicit-def: $vgpr12
                                        ; implicit-def: $vgpr16
                                        ; implicit-def: $vgpr23
                                        ; implicit-def: $vgpr25
                                        ; implicit-def: $vgpr29
                                        ; implicit-def: $vgpr27
                                        ; implicit-def: $vgpr31
	s_xor_b32 exec_lo, exec_lo, s1
	s_cbranch_execz .LBB0_15
; %bb.12:
	s_add_nc_u64 s[6:7], s[12:13], s[6:7]
	v_mul_u32_u24_e32 v9, 0xf0, v9
	s_load_b64 s[6:7], s[6:7], 0x0
	v_lshlrev_b64_e32 v[5:6], 3, v[5:6]
	v_mov_b32_e32 v18, 0
                                        ; implicit-def: $vgpr28
                                        ; implicit-def: $vgpr24
	v_mov_b32_e32 v19, 0
	v_sub_nc_u32_e32 v32, v0, v9
	s_wait_kmcnt 0x0
	v_mul_lo_u32 v10, s7, v3
	v_mul_lo_u32 v11, s6, v4
	v_mad_co_u64_u32 v[7:8], null, s6, v3, 0
	s_mov_b32 s6, exec_lo
	s_delay_alu instid0(VALU_DEP_1) | instskip(NEXT) | instid1(VALU_DEP_1)
	v_add3_u32 v8, v8, v11, v10
	v_lshlrev_b64_e32 v[7:8], 3, v[7:8]
	s_delay_alu instid0(VALU_DEP_1) | instskip(SKIP_1) | instid1(VALU_DEP_2)
	v_add_co_u32 v0, s0, s8, v7
	s_wait_alu 0xf1ff
	v_add_co_ci_u32_e64 v7, s0, s9, v8, s0
	v_lshlrev_b32_e32 v8, 3, v32
	s_delay_alu instid0(VALU_DEP_3) | instskip(SKIP_1) | instid1(VALU_DEP_3)
	v_add_co_u32 v0, s0, v0, v5
	s_wait_alu 0xf1ff
	v_add_co_ci_u32_e64 v6, s0, v7, v6, s0
	v_mov_b32_e32 v7, 0
	s_delay_alu instid0(VALU_DEP_3) | instskip(SKIP_1) | instid1(VALU_DEP_3)
	v_add_co_u32 v5, s0, v0, v8
	s_wait_alu 0xf1ff
	v_add_co_ci_u32_e64 v6, s0, 0, v6, s0
	v_mov_b32_e32 v8, 0
	s_clause 0x7
	global_load_b64 v[9:10], v[5:6], off
	global_load_b64 v[20:21], v[5:6], off offset:9600
	global_load_b64 v[15:16], v[5:6], off offset:6720
	global_load_b64 v[13:14], v[5:6], off offset:4800
	global_load_b64 v[11:12], v[5:6], off offset:1920
	global_load_b64 v[26:27], v[5:6], off offset:16320
	global_load_b64 v[30:31], v[5:6], off offset:14400
	global_load_b64 v[22:23], v[5:6], off offset:11520
	v_cmpx_gt_u32_e32 0x78, v32
; %bb.13:
	s_clause 0x3
	global_load_b64 v[7:8], v[5:6], off offset:3840
	global_load_b64 v[18:19], v[5:6], off offset:8640
	;; [unrolled: 1-line block ×4, first 2 shown]
; %bb.14:
	s_wait_alu 0xfffe
	s_or_b32 exec_lo, exec_lo, s6
.LBB0_15:
	s_delay_alu instid0(SALU_CYCLE_1)
	s_or_b32 exec_lo, exec_lo, s1
	s_wait_loadcnt 0x0
	v_dual_sub_f32 v0, v9, v20 :: v_dual_sub_f32 v5, v11, v22
	v_sub_f32_e32 v30, v13, v30
	v_sub_f32_e32 v22, v15, v26
	v_cmp_gt_u32_e64 s0, 0x78, v32
	s_delay_alu instid0(VALU_DEP_4)
	v_fma_f32 v6, v9, 2.0, -v0
	v_sub_f32_e32 v9, v16, v27
	v_fma_f32 v17, v13, 2.0, -v30
	v_sub_f32_e32 v13, v14, v31
	v_fma_f32 v20, v11, 2.0, -v5
	v_fma_f32 v15, v15, 2.0, -v22
	v_sub_f32_e32 v11, v7, v24
	v_sub_f32_e32 v24, v18, v28
	v_add_f32_e32 v34, v0, v13
	v_sub_f32_e32 v33, v6, v17
	v_sub_f32_e32 v35, v20, v15
	v_fma_f32 v15, v7, 2.0, -v11
	v_dual_sub_f32 v7, v19, v29 :: v_dual_add_nc_u32 v26, 0x1e0, v32
	v_fma_f32 v38, v0, 2.0, -v34
	v_fma_f32 v0, v18, 2.0, -v24
	v_add_f32_e32 v36, v5, v9
	v_fma_f32 v17, v20, 2.0, -v35
	v_add_nc_u32_e32 v20, 0xf0, v32
	v_fma_f32 v37, v6, 2.0, -v33
	v_add_f32_e32 v6, v11, v7
	v_fma_f32 v18, v5, 2.0, -v36
	v_sub_f32_e32 v5, v15, v0
	v_lshl_add_u32 v0, v32, 4, 0
	v_lshl_add_u32 v27, v20, 4, 0
	;; [unrolled: 1-line block ×3, first 2 shown]
	ds_store_2addr_b64 v0, v[37:38], v[33:34] offset1:1
	ds_store_2addr_b64 v27, v[17:18], v[35:36] offset1:1
	s_and_saveexec_b32 s1, s0
	s_cbranch_execz .LBB0_17
; %bb.16:
	v_fma_f32 v18, v11, 2.0, -v6
	v_fma_f32 v17, v15, 2.0, -v5
	ds_store_2addr_b64 v26, v[17:18], v[5:6] offset1:1
.LBB0_17:
	s_wait_alu 0xfffe
	s_or_b32 exec_lo, exec_lo, s1
	v_dual_sub_f32 v34, v10, v21 :: v_dual_sub_f32 v23, v12, v23
	v_fma_f32 v31, v16, 2.0, -v9
	v_mad_i32_i24 v9, v32, -12, v0
	v_fma_f32 v28, v14, 2.0, -v13
	s_delay_alu instid0(VALU_DEP_4)
	v_fma_f32 v33, v10, 2.0, -v34
	v_fma_f32 v35, v12, 2.0, -v23
	v_sub_f32_e32 v21, v8, v25
	v_add_nc_u32_e32 v11, 0x780, v9
	v_dual_sub_f32 v29, v34, v30 :: v_dual_add_nc_u32 v12, 0xf00, v9
	v_dual_sub_f32 v28, v33, v28 :: v_dual_add_nc_u32 v13, 0x1680, v9
	v_add_nc_u32_e32 v25, 0x1e00, v9
	global_wb scope:SCOPE_SE
	s_wait_dscnt 0x0
	s_wait_kmcnt 0x0
	s_barrier_signal -1
	s_barrier_wait -1
	global_inv scope:SCOPE_SE
	v_sub_f32_e32 v30, v35, v31
	v_sub_f32_e32 v31, v23, v22
	v_fma_f32 v22, v8, 2.0, -v21
	v_sub_f32_e32 v8, v21, v24
	ds_load_2addr_b32 v[9:10], v9 offset1:240
	ds_load_2addr_b32 v[17:18], v11 offset1:240
	;; [unrolled: 1-line block ×5, first 2 shown]
	v_fma_f32 v7, v19, 2.0, -v7
	v_fma_f32 v33, v33, 2.0, -v28
	;; [unrolled: 1-line block ×3, first 2 shown]
	v_mul_i32_i24_e32 v19, -12, v32
	v_fma_f32 v35, v35, 2.0, -v30
	v_sub_f32_e32 v7, v22, v7
	v_fma_f32 v36, v23, 2.0, -v31
	global_wb scope:SCOPE_SE
	s_wait_dscnt 0x0
	s_barrier_signal -1
	s_barrier_wait -1
	global_inv scope:SCOPE_SE
	ds_store_2addr_b64 v0, v[33:34], v[28:29] offset1:1
	ds_store_2addr_b64 v27, v[35:36], v[30:31] offset1:1
	s_and_saveexec_b32 s1, s0
	s_cbranch_execz .LBB0_19
; %bb.18:
	v_fma_f32 v22, v22, 2.0, -v7
	v_fma_f32 v23, v21, 2.0, -v8
	ds_store_2addr_b64 v26, v[22:23], v[7:8] offset1:1
.LBB0_19:
	s_wait_alu 0xfffe
	s_or_b32 exec_lo, exec_lo, s1
	v_and_b32_e32 v31, 3, v32
	global_wb scope:SCOPE_SE
	s_wait_dscnt 0x0
	s_barrier_signal -1
	s_barrier_wait -1
	global_inv scope:SCOPE_SE
	v_mul_u32_u24_e32 v21, 9, v31
	v_lshrrev_b32_e32 v47, 2, v32
	v_cmp_gt_u32_e64 s0, 0xa0, v32
	s_delay_alu instid0(VALU_DEP_3) | instskip(NEXT) | instid1(VALU_DEP_3)
	v_lshlrev_b32_e32 v29, 3, v21
	v_mul_u32_u24_e32 v51, 40, v47
	s_clause 0x4
	global_load_b128 v[21:24], v29, s[4:5]
	global_load_b128 v[25:28], v29, s[4:5] offset:16
	global_load_b128 v[33:36], v29, s[4:5] offset:32
	;; [unrolled: 1-line block ×3, first 2 shown]
	global_load_b64 v[29:30], v29, s[4:5] offset:64
	v_add_nc_u32_e32 v0, v0, v19
	s_delay_alu instid0(VALU_DEP_1)
	v_add_nc_u32_e32 v53, 0x780, v0
	v_add_nc_u32_e32 v55, 0xf00, v0
	ds_load_2addr_b32 v[43:44], v53 offset1:240
	v_and_b32_e32 v41, 0xff, v32
	s_wait_loadcnt_dscnt 0x400
	v_mul_f32_e32 v54, v43, v24
	s_wait_loadcnt 0x3
	v_mul_f32_e32 v58, v44, v26
	v_mul_lo_u16 v41, 0xcd, v41
	v_mul_f32_e32 v26, v18, v26
	s_delay_alu instid0(VALU_DEP_2) | instskip(NEXT) | instid1(VALU_DEP_1)
	v_lshrrev_b16 v19, 13, v41
	v_mul_lo_u16 v45, v19, 40
	s_delay_alu instid0(VALU_DEP_1)
	v_sub_nc_u16 v48, v32, v45
	ds_load_2addr_b32 v[45:46], v55 offset1:240
	s_wait_loadcnt_dscnt 0x200
	v_dual_mul_f32 v61, v46, v34 :: v_dual_and_b32 v56, 0xff, v48
	v_add_nc_u32_e32 v57, 0x1680, v0
	v_add_nc_u32_e32 v59, 0x1e00, v0
	ds_load_2addr_b32 v[41:42], v0 offset1:240
	ds_load_2addr_b32 v[47:48], v57 offset1:240
	ds_load_2addr_b32 v[49:50], v59 offset1:240
	v_mul_f32_e32 v24, v17, v24
	v_dual_mul_f32 v60, v45, v28 :: v_dual_fmac_f32 v61, v16, v33
	v_mul_f32_e32 v34, v16, v34
	global_wb scope:SCOPE_SE
	s_wait_loadcnt_dscnt 0x0
	s_barrier_signal -1
	v_fmac_f32_e32 v60, v15, v27
	s_barrier_wait -1
	v_fma_f32 v16, v46, v33, -v34
	global_inv scope:SCOPE_SE
	v_mul_f32_e32 v52, v42, v22
	v_or_b32_e32 v31, v51, v31
	v_mul_f32_e32 v63, v48, v38
	v_mul_u32_u24_e32 v51, 9, v56
	v_dual_mul_f32 v28, v15, v28 :: v_dual_mul_f32 v65, v50, v30
	v_mul_f32_e32 v62, v47, v36
	s_delay_alu instid0(VALU_DEP_3) | instskip(SKIP_1) | instid1(VALU_DEP_4)
	v_dual_mul_f32 v30, v12, v30 :: v_dual_lshlrev_b32 v51, 3, v51
	v_fmac_f32_e32 v63, v14, v37
	v_fma_f32 v15, v45, v27, -v28
	v_dual_mul_f32 v36, v13, v36 :: v_dual_fmac_f32 v65, v12, v29
	v_fmac_f32_e32 v62, v13, v35
	v_mul_f32_e32 v64, v49, v40
	v_fma_f32 v12, v50, v29, -v30
	s_delay_alu instid0(VALU_DEP_4) | instskip(SKIP_1) | instid1(VALU_DEP_4)
	v_fma_f32 v13, v47, v35, -v36
	v_mul_f32_e32 v22, v10, v22
	v_dual_sub_f32 v35, v60, v62 :: v_dual_fmac_f32 v64, v11, v39
	v_fmac_f32_e32 v54, v17, v23
	v_fma_f32 v17, v43, v23, -v24
	v_fmac_f32_e32 v52, v10, v21
	v_fma_f32 v10, v42, v21, -v22
	v_sub_f32_e32 v29, v62, v64
	v_dual_mul_f32 v40, v11, v40 :: v_dual_add_f32 v21, v9, v54
	v_dual_mul_f32 v38, v14, v38 :: v_dual_add_f32 v33, v15, v13
	v_lshl_add_u32 v31, v31, 2, 0
	s_delay_alu instid0(VALU_DEP_3)
	v_fma_f32 v11, v49, v39, -v40
	v_fmac_f32_e32 v58, v18, v25
	v_fma_f32 v18, v44, v25, -v26
	v_add_f32_e32 v30, v41, v17
	v_fma_f32 v14, v48, v37, -v38
	v_sub_f32_e32 v23, v17, v11
	v_sub_f32_e32 v39, v13, v11
	v_add_f32_e32 v69, v18, v12
	v_sub_f32_e32 v43, v18, v12
	v_add_f32_e32 v27, v54, v64
	v_dual_sub_f32 v25, v54, v60 :: v_dual_sub_f32 v26, v64, v62
	v_dual_sub_f32 v28, v60, v54 :: v_dual_sub_f32 v45, v58, v61
	v_dual_add_f32 v40, v52, v58 :: v_dual_add_f32 v21, v21, v60
	v_dual_add_f32 v22, v60, v62 :: v_dual_sub_f32 v37, v11, v13
	v_dual_sub_f32 v24, v15, v13 :: v_dual_sub_f32 v67, v18, v16
	v_dual_sub_f32 v34, v54, v64 :: v_dual_sub_f32 v49, v63, v65
	v_dual_sub_f32 v36, v17, v15 :: v_dual_add_f32 v47, v58, v65
	v_dual_add_f32 v38, v17, v11 :: v_dual_sub_f32 v17, v15, v17
	v_dual_sub_f32 v48, v61, v58 :: v_dual_add_f32 v15, v30, v15
	v_dual_sub_f32 v58, v58, v65 :: v_dual_add_f32 v25, v25, v26
	v_dual_add_f32 v26, v28, v29 :: v_dual_add_f32 v21, v21, v62
	v_dual_add_f32 v29, v40, v61 :: v_dual_add_f32 v42, v61, v63
	v_sub_f32_e32 v44, v16, v14
	v_dual_sub_f32 v66, v61, v63 :: v_dual_add_f32 v13, v15, v13
	v_fma_f32 v22, -0.5, v22, v9
	v_dual_fmac_f32 v9, -0.5, v27 :: v_dual_add_f32 v54, v16, v14
	v_fma_f32 v27, -0.5, v33, v41
	v_dual_add_f32 v28, v36, v37 :: v_dual_fmac_f32 v41, -0.5, v38
	v_dual_add_f32 v36, v48, v49 :: v_dual_add_f32 v29, v29, v63
	v_sub_f32_e32 v46, v65, v63
	v_dual_add_f32 v50, v10, v18 :: v_dual_add_f32 v17, v17, v39
	v_sub_f32_e32 v18, v16, v18
	v_fma_f32 v30, -0.5, v42, v52
	v_fmamk_f32 v39, v23, 0xbf737871, v22
	v_fmac_f32_e32 v22, 0x3f737871, v23
	v_dual_fmamk_f32 v40, v24, 0x3f737871, v9 :: v_dual_add_f32 v11, v13, v11
	v_fmac_f32_e32 v9, 0xbf737871, v24
	v_fma_f32 v37, -0.5, v54, v10
	v_dual_fmac_f32 v10, -0.5, v69 :: v_dual_add_f32 v21, v21, v64
	v_dual_add_f32 v13, v29, v65 :: v_dual_fmamk_f32 v42, v35, 0xbf737871, v41
	v_dual_fmac_f32 v41, 0x3f737871, v35 :: v_dual_sub_f32 v70, v14, v12
	v_dual_add_f32 v33, v45, v46 :: v_dual_add_f32 v16, v50, v16
	v_fmamk_f32 v45, v43, 0xbf737871, v30
	s_delay_alu instid0(VALU_DEP_3)
	v_dual_fmac_f32 v40, 0xbf167918, v23 :: v_dual_fmac_f32 v41, 0xbf167918, v34
	v_dual_sub_f32 v68, v12, v14 :: v_dual_fmamk_f32 v15, v34, 0x3f737871, v27
	v_fmac_f32_e32 v52, -0.5, v47
	v_dual_add_f32 v18, v18, v70 :: v_dual_fmac_f32 v39, 0xbf167918, v24
	v_fmac_f32_e32 v27, 0xbf737871, v34
	v_dual_add_f32 v14, v16, v14 :: v_dual_fmac_f32 v9, 0x3f167918, v23
	v_fmac_f32_e32 v41, 0x3e9e377a, v17
	v_fmamk_f32 v16, v58, 0x3f737871, v37
	v_fmac_f32_e32 v37, 0xbf737871, v58
	v_dual_fmac_f32 v22, 0x3f167918, v24 :: v_dual_fmac_f32 v15, 0x3f167918, v35
	v_dual_fmac_f32 v27, 0xbf167918, v35 :: v_dual_add_f32 v12, v14, v12
	s_delay_alu instid0(VALU_DEP_3)
	v_dual_fmac_f32 v37, 0xbf167918, v66 :: v_dual_add_f32 v14, v21, v13
	v_dual_fmac_f32 v39, 0x3e9e377a, v25 :: v_dual_fmac_f32 v40, 0x3e9e377a, v26
	v_dual_sub_f32 v13, v21, v13 :: v_dual_fmac_f32 v42, 0x3f167918, v34
	v_dual_add_f32 v38, v67, v68 :: v_dual_fmamk_f32 v47, v66, 0xbf737871, v10
	v_fmac_f32_e32 v15, 0x3e9e377a, v28
	v_fmac_f32_e32 v30, 0x3f737871, v43
	s_delay_alu instid0(VALU_DEP_4) | instskip(SKIP_4) | instid1(VALU_DEP_4)
	v_dual_fmac_f32 v42, 0x3e9e377a, v17 :: v_dual_add_f32 v17, v11, v12
	v_fmac_f32_e32 v10, 0x3f737871, v66
	v_dual_fmac_f32 v22, 0x3e9e377a, v25 :: v_dual_fmac_f32 v9, 0x3e9e377a, v26
	v_fmamk_f32 v46, v44, 0x3f737871, v52
	v_dual_fmac_f32 v30, 0x3f167918, v44 :: v_dual_fmac_f32 v47, 0x3f167918, v58
	v_fmac_f32_e32 v10, 0xbf167918, v58
	v_fmac_f32_e32 v37, 0x3e9e377a, v38
	s_delay_alu instid0(VALU_DEP_3) | instskip(NEXT) | instid1(VALU_DEP_4)
	v_dual_fmac_f32 v27, 0x3e9e377a, v28 :: v_dual_fmac_f32 v30, 0x3e9e377a, v33
	v_fmac_f32_e32 v47, 0x3e9e377a, v18
	s_delay_alu instid0(VALU_DEP_4) | instskip(SKIP_2) | instid1(VALU_DEP_3)
	v_fmac_f32_e32 v10, 0x3e9e377a, v18
	v_fmac_f32_e32 v52, 0xbf737871, v44
	v_dual_mul_f32 v25, 0xbf4f1bbd, v37 :: v_dual_sub_f32 v18, v11, v12
	v_mul_f32_e32 v21, 0xbf737871, v10
	s_delay_alu instid0(VALU_DEP_2) | instskip(SKIP_1) | instid1(VALU_DEP_2)
	v_dual_fmac_f32 v52, 0x3f167918, v43 :: v_dual_fmac_f32 v25, 0x3f167918, v30
	v_mul_f32_e32 v24, 0x3e9e377a, v47
	v_fmac_f32_e32 v52, 0x3e9e377a, v36
	s_delay_alu instid0(VALU_DEP_1) | instskip(NEXT) | instid1(VALU_DEP_1)
	v_dual_mul_f32 v10, 0xbe9e377a, v10 :: v_dual_fmac_f32 v21, 0xbe9e377a, v52
	v_dual_fmac_f32 v10, 0x3f737871, v52 :: v_dual_add_f32 v29, v9, v21
	v_dual_fmac_f32 v45, 0xbf167918, v44 :: v_dual_fmac_f32 v46, 0xbf167918, v43
	s_delay_alu instid0(VALU_DEP_1) | instskip(NEXT) | instid1(VALU_DEP_3)
	v_dual_sub_f32 v9, v9, v21 :: v_dual_fmac_f32 v46, 0x3e9e377a, v36
	v_add_f32_e32 v35, v41, v10
	v_fmac_f32_e32 v16, 0x3f167918, v66
	s_delay_alu instid0(VALU_DEP_4) | instskip(SKIP_2) | instid1(VALU_DEP_4)
	v_fmac_f32_e32 v45, 0x3e9e377a, v33
	v_add_f32_e32 v36, v27, v25
	v_sub_f32_e32 v10, v41, v10
	v_fmac_f32_e32 v16, 0x3e9e377a, v38
	s_delay_alu instid0(VALU_DEP_1) | instskip(NEXT) | instid1(VALU_DEP_1)
	v_mul_f32_e32 v11, 0xbf167918, v16
	v_dual_mul_f32 v16, 0x3f4f1bbd, v16 :: v_dual_fmac_f32 v11, 0x3f4f1bbd, v45
	s_delay_alu instid0(VALU_DEP_1) | instskip(SKIP_1) | instid1(VALU_DEP_3)
	v_fmac_f32_e32 v16, 0x3f167918, v45
	v_mul_f32_e32 v12, 0xbf737871, v47
	v_dual_mul_f32 v23, 0xbf167918, v37 :: v_dual_add_f32 v26, v39, v11
	s_delay_alu instid0(VALU_DEP_3) | instskip(NEXT) | instid1(VALU_DEP_3)
	v_add_f32_e32 v33, v15, v16
	v_dual_sub_f32 v15, v15, v16 :: v_dual_fmac_f32 v12, 0x3e9e377a, v46
	s_delay_alu instid0(VALU_DEP_3) | instskip(NEXT) | instid1(VALU_DEP_2)
	v_fmac_f32_e32 v23, 0xbf4f1bbd, v30
	v_dual_sub_f32 v11, v39, v11 :: v_dual_add_f32 v28, v40, v12
	s_delay_alu instid0(VALU_DEP_2)
	v_add_f32_e32 v30, v22, v23
	v_dual_sub_f32 v12, v40, v12 :: v_dual_sub_f32 v21, v22, v23
	v_sub_f32_e32 v23, v27, v25
	ds_store_2addr_b32 v31, v14, v26 offset1:4
	ds_store_2addr_b32 v31, v28, v29 offset0:8 offset1:12
	ds_store_2addr_b32 v31, v30, v13 offset0:16 offset1:20
	;; [unrolled: 1-line block ×4, first 2 shown]
	global_wb scope:SCOPE_SE
	s_wait_dscnt 0x0
	s_barrier_signal -1
	s_barrier_wait -1
	global_inv scope:SCOPE_SE
	ds_load_2addr_b32 v[11:12], v0 offset1:240
	ds_load_2addr_b32 v[21:22], v53 offset1:240
	;; [unrolled: 1-line block ×5, first 2 shown]
	v_fmac_f32_e32 v24, 0x3f737871, v46
	global_wb scope:SCOPE_SE
	s_wait_dscnt 0x0
	s_barrier_signal -1
	s_barrier_wait -1
	global_inv scope:SCOPE_SE
	v_add_f32_e32 v34, v42, v24
	v_dual_sub_f32 v16, v42, v24 :: v_dual_and_b32 v13, 0xffff, v19
	ds_store_2addr_b32 v31, v17, v33 offset1:4
	ds_store_2addr_b32 v31, v34, v35 offset0:8 offset1:12
	ds_store_2addr_b32 v31, v36, v18 offset0:16 offset1:20
	;; [unrolled: 1-line block ×4, first 2 shown]
	global_wb scope:SCOPE_SE
	s_wait_dscnt 0x0
	s_barrier_signal -1
	s_barrier_wait -1
	global_inv scope:SCOPE_SE
	s_clause 0x4
	global_load_b128 v[15:18], v51, s[4:5] offset:288
	global_load_b128 v[34:37], v51, s[4:5] offset:304
	;; [unrolled: 1-line block ×4, first 2 shown]
	global_load_b64 v[51:52], v51, s[4:5] offset:352
	ds_load_2addr_b32 v[53:54], v53 offset1:240
	ds_load_2addr_b32 v[57:58], v57 offset1:240
	;; [unrolled: 1-line block ×4, first 2 shown]
	v_mul_u32_u24_e32 v13, 0x640, v13
	s_wait_loadcnt_dscnt 0x303
	v_dual_mul_f32 v38, v53, v18 :: v_dual_mul_f32 v19, v54, v35
	v_lshlrev_b32_e32 v14, 2, v56
	ds_load_2addr_b32 v[55:56], v55 offset1:240
	v_mul_f32_e32 v23, v22, v35
	v_mul_f32_e32 v35, v27, v37
	v_fmac_f32_e32 v19, v22, v34
	v_add3_u32 v24, 0, v13, v14
	s_wait_loadcnt_dscnt 0x2
	v_dual_mul_f32 v18, v21, v18 :: v_dual_mul_f32 v63, v60, v52
	v_mul_f32_e32 v33, v57, v42
	v_fma_f32 v29, v54, v34, -v23
	v_add_nc_u32_e32 v26, 0x400, v24
	v_mul_f32_e32 v13, v12, v16
	v_fma_f32 v31, v53, v17, -v18
	v_fmac_f32_e32 v33, v47, v41
	v_fmac_f32_e32 v63, v50, v51
	v_add_nc_u32_e32 v25, 0x200, v24
	global_wb scope:SCOPE_SE
	s_wait_dscnt 0x0
	s_barrier_signal -1
	s_barrier_wait -1
	global_inv scope:SCOPE_SE
	v_dual_mul_f32 v61, v56, v40 :: v_dual_mul_f32 v30, v55, v37
	v_mul_f32_e32 v37, v28, v40
	v_fma_f32 v34, v55, v36, -v35
	v_mul_f32_e32 v40, v47, v42
	s_delay_alu instid0(VALU_DEP_4) | instskip(SKIP_2) | instid1(VALU_DEP_4)
	v_dual_mul_f32 v42, v59, v46 :: v_dual_fmac_f32 v61, v28, v39
	v_mul_f32_e32 v46, v49, v46
	v_fma_f32 v28, v56, v39, -v37
	v_fma_f32 v35, v57, v41, -v40
	v_fmac_f32_e32 v38, v21, v17
	v_sub_f32_e32 v41, v19, v61
	v_fma_f32 v37, v59, v45, -v46
	v_mul_f32_e32 v14, v10, v16
	v_fma_f32 v16, v10, v15, -v13
	v_fmac_f32_e32 v30, v27, v36
	s_delay_alu instid0(VALU_DEP_4) | instskip(NEXT) | instid1(VALU_DEP_4)
	v_dual_mul_f32 v62, v58, v44 :: v_dual_sub_f32 v13, v31, v37
	v_fmac_f32_e32 v14, v12, v15
	v_sub_f32_e32 v17, v34, v35
	s_delay_alu instid0(VALU_DEP_4) | instskip(NEXT) | instid1(VALU_DEP_3)
	v_sub_f32_e32 v23, v30, v38
	v_dual_add_f32 v39, v14, v19 :: v_dual_fmac_f32 v42, v49, v45
	v_dual_mul_f32 v44, v48, v44 :: v_dual_sub_f32 v45, v61, v19
	s_delay_alu instid0(VALU_DEP_2) | instskip(NEXT) | instid1(VALU_DEP_2)
	v_sub_f32_e32 v21, v42, v33
	v_fma_f32 v27, v58, v43, -v44
	v_add_f32_e32 v44, v19, v63
	v_sub_f32_e32 v19, v19, v63
	s_delay_alu instid0(VALU_DEP_3) | instskip(SKIP_2) | instid1(VALU_DEP_2)
	v_sub_f32_e32 v47, v28, v27
	v_fmac_f32_e32 v62, v48, v43
	v_dual_mul_f32 v52, v50, v52 :: v_dual_add_f32 v49, v28, v27
	v_dual_sub_f32 v54, v28, v29 :: v_dual_sub_f32 v43, v63, v62
	s_delay_alu instid0(VALU_DEP_2) | instskip(SKIP_2) | instid1(VALU_DEP_3)
	v_fma_f32 v15, v60, v51, -v52
	v_add_f32_e32 v12, v30, v33
	v_dual_add_f32 v22, v38, v42 :: v_dual_sub_f32 v51, v29, v28
	v_dual_add_f32 v10, v11, v38 :: v_dual_add_f32 v53, v29, v15
	v_sub_f32_e32 v52, v15, v27
	v_sub_f32_e32 v36, v33, v42
	v_dual_sub_f32 v18, v38, v30 :: v_dual_sub_f32 v55, v27, v15
	v_add_f32_e32 v40, v61, v62
	v_fma_f32 v12, -0.5, v12, v11
	s_delay_alu instid0(VALU_DEP_3)
	v_dual_add_f32 v18, v18, v21 :: v_dual_add_f32 v21, v23, v36
	v_add_f32_e32 v23, v41, v43
	v_dual_sub_f32 v46, v29, v15 :: v_dual_fmac_f32 v11, -0.5, v22
	v_add_f32_e32 v22, v39, v61
	v_fma_f32 v39, -0.5, v49, v16
	v_add_f32_e32 v49, v51, v52
	v_add_f32_e32 v51, v54, v55
	v_fma_f32 v36, -0.5, v40, v14
	v_fma_f32 v40, -0.5, v53, v16
	v_dual_fmamk_f32 v53, v17, 0x3f737871, v11 :: v_dual_sub_f32 v48, v62, v63
	v_dual_fmac_f32 v11, 0xbf737871, v17 :: v_dual_sub_f32 v50, v61, v62
	s_delay_alu instid0(VALU_DEP_4) | instskip(SKIP_1) | instid1(VALU_DEP_3)
	v_fmamk_f32 v41, v46, 0xbf737871, v36
	v_add_f32_e32 v10, v10, v30
	v_dual_fmac_f32 v14, -0.5, v44 :: v_dual_fmac_f32 v11, 0x3f167918, v13
	v_fmac_f32_e32 v53, 0xbf167918, v13
	s_delay_alu instid0(VALU_DEP_4) | instskip(NEXT) | instid1(VALU_DEP_3)
	v_dual_fmac_f32 v41, 0xbf167918, v47 :: v_dual_add_f32 v22, v22, v62
	v_fmamk_f32 v43, v47, 0x3f737871, v14
	s_delay_alu instid0(VALU_DEP_4) | instskip(NEXT) | instid1(VALU_DEP_4)
	v_fmac_f32_e32 v11, 0x3e9e377a, v21
	v_dual_fmac_f32 v53, 0x3e9e377a, v21 :: v_dual_add_f32 v48, v45, v48
	v_dual_fmamk_f32 v45, v19, 0x3f737871, v39 :: v_dual_add_f32 v10, v10, v33
	s_delay_alu instid0(VALU_DEP_4) | instskip(SKIP_2) | instid1(VALU_DEP_4)
	v_fmac_f32_e32 v43, 0xbf167918, v46
	v_fmamk_f32 v44, v50, 0xbf737871, v40
	v_fmac_f32_e32 v40, 0x3f737871, v50
	v_dual_fmac_f32 v39, 0xbf737871, v19 :: v_dual_add_f32 v10, v10, v42
	s_delay_alu instid0(VALU_DEP_3) | instskip(NEXT) | instid1(VALU_DEP_2)
	v_dual_fmac_f32 v45, 0x3f167918, v50 :: v_dual_fmac_f32 v44, 0x3f167918, v19
	v_dual_fmac_f32 v40, 0xbf167918, v19 :: v_dual_fmac_f32 v39, 0xbf167918, v50
	v_fmac_f32_e32 v41, 0x3e9e377a, v23
	s_delay_alu instid0(VALU_DEP_3) | instskip(NEXT) | instid1(VALU_DEP_3)
	v_dual_fmac_f32 v45, 0x3e9e377a, v49 :: v_dual_fmac_f32 v44, 0x3e9e377a, v51
	v_dual_fmac_f32 v40, 0x3e9e377a, v51 :: v_dual_fmac_f32 v39, 0x3e9e377a, v49
	v_fmamk_f32 v52, v13, 0xbf737871, v12
	v_dual_fmac_f32 v12, 0x3f737871, v13 :: v_dual_add_f32 v13, v22, v63
	v_fmac_f32_e32 v36, 0x3f737871, v46
	s_delay_alu instid0(VALU_DEP_4) | instskip(NEXT) | instid1(VALU_DEP_4)
	v_mul_f32_e32 v19, 0xbf737871, v40
	v_fmac_f32_e32 v52, 0xbf167918, v17
	s_delay_alu instid0(VALU_DEP_4) | instskip(SKIP_2) | instid1(VALU_DEP_4)
	v_fmac_f32_e32 v12, 0x3f167918, v17
	v_dual_mul_f32 v21, 0xbf167918, v39 :: v_dual_add_f32 v22, v10, v13
	v_fmac_f32_e32 v36, 0x3f167918, v47
	v_fmac_f32_e32 v52, 0x3e9e377a, v18
	s_delay_alu instid0(VALU_DEP_4) | instskip(SKIP_1) | instid1(VALU_DEP_4)
	v_dual_fmac_f32 v12, 0x3e9e377a, v18 :: v_dual_fmac_f32 v43, 0x3e9e377a, v48
	v_mul_f32_e32 v17, 0xbf167918, v45
	v_fmac_f32_e32 v36, 0x3e9e377a, v23
	v_dual_mul_f32 v18, 0xbf737871, v44 :: v_dual_sub_f32 v23, v10, v13
	s_delay_alu instid0(VALU_DEP_2) | instskip(SKIP_1) | instid1(VALU_DEP_2)
	v_fmac_f32_e32 v21, 0xbf4f1bbd, v36
	v_fmac_f32_e32 v14, 0xbf737871, v47
	v_dual_fmac_f32 v18, 0x3e9e377a, v43 :: v_dual_add_f32 v49, v12, v21
	s_delay_alu instid0(VALU_DEP_2) | instskip(NEXT) | instid1(VALU_DEP_2)
	v_fmac_f32_e32 v14, 0x3f167918, v46
	v_add_f32_e32 v47, v53, v18
	s_delay_alu instid0(VALU_DEP_2) | instskip(NEXT) | instid1(VALU_DEP_1)
	v_dual_sub_f32 v13, v53, v18 :: v_dual_fmac_f32 v14, 0x3e9e377a, v48
	v_fmac_f32_e32 v19, 0xbe9e377a, v14
	s_delay_alu instid0(VALU_DEP_1) | instskip(NEXT) | instid1(VALU_DEP_1)
	v_dual_fmac_f32 v17, 0x3f4f1bbd, v41 :: v_dual_add_f32 v48, v11, v19
	v_add_f32_e32 v46, v52, v17
	v_dual_sub_f32 v10, v52, v17 :: v_dual_sub_f32 v11, v11, v19
	v_sub_f32_e32 v12, v12, v21
	ds_store_2addr_b32 v24, v22, v46 offset1:40
	ds_store_2addr_b32 v24, v47, v48 offset0:80 offset1:120
	ds_store_2addr_b32 v24, v49, v23 offset0:160 offset1:200
	;; [unrolled: 1-line block ×4, first 2 shown]
	global_wb scope:SCOPE_SE
	s_wait_dscnt 0x0
	s_barrier_signal -1
	s_barrier_wait -1
	global_inv scope:SCOPE_SE
	ds_load_b32 v17, v0
	ds_load_b32 v21, v0 offset:1600
	ds_load_b32 v18, v0 offset:3200
	;; [unrolled: 1-line block ×5, first 2 shown]
	s_and_saveexec_b32 s1, s0
	s_cbranch_execz .LBB0_21
; %bb.20:
	ds_load_b32 v10, v0 offset:960
	ds_load_b32 v13, v0 offset:2560
	;; [unrolled: 1-line block ×6, first 2 shown]
.LBB0_21:
	s_wait_alu 0xfffe
	s_or_b32 exec_lo, exec_lo, s1
	v_dual_add_f32 v47, v34, v35 :: v_dual_add_f32 v48, v31, v37
	v_add_f32_e32 v46, v9, v31
	v_dual_sub_f32 v38, v38, v42 :: v_dual_sub_f32 v49, v37, v35
	v_sub_f32_e32 v42, v31, v34
	s_delay_alu instid0(VALU_DEP_4) | instskip(NEXT) | instid1(VALU_DEP_4)
	v_fma_f32 v47, -0.5, v47, v9
	v_dual_fmac_f32 v9, -0.5, v48 :: v_dual_add_f32 v46, v46, v34
	v_sub_f32_e32 v30, v30, v33
	v_dual_sub_f32 v31, v34, v31 :: v_dual_sub_f32 v34, v35, v37
	global_wb scope:SCOPE_SE
	s_wait_dscnt 0x0
	v_add_f32_e32 v33, v46, v35
	v_fmamk_f32 v46, v38, 0x3f737871, v47
	v_dual_fmac_f32 v47, 0xbf737871, v38 :: v_dual_add_f32 v16, v16, v29
	v_add_f32_e32 v42, v42, v49
	s_delay_alu instid0(VALU_DEP_4) | instskip(SKIP_1) | instid1(VALU_DEP_4)
	v_add_f32_e32 v33, v33, v37
	v_add_f32_e32 v29, v31, v34
	v_dual_fmac_f32 v47, 0xbf167918, v30 :: v_dual_add_f32 v16, v16, v28
	s_barrier_signal -1
	s_barrier_wait -1
	global_inv scope:SCOPE_SE
	v_dual_add_f32 v16, v16, v27 :: v_dual_mul_f32 v27, 0x3f4f1bbd, v45
	s_delay_alu instid0(VALU_DEP_1) | instskip(SKIP_2) | instid1(VALU_DEP_3)
	v_dual_fmac_f32 v46, 0x3f167918, v30 :: v_dual_add_f32 v15, v16, v15
	v_fmamk_f32 v48, v30, 0xbf737871, v9
	v_fmac_f32_e32 v9, 0x3f737871, v30
	v_fmac_f32_e32 v46, 0x3e9e377a, v42
	v_fmac_f32_e32 v27, 0x3f167918, v41
	s_delay_alu instid0(VALU_DEP_4) | instskip(NEXT) | instid1(VALU_DEP_4)
	v_dual_add_f32 v31, v33, v15 :: v_dual_fmac_f32 v48, 0x3f167918, v38
	v_fmac_f32_e32 v9, 0xbf167918, v38
	s_delay_alu instid0(VALU_DEP_3) | instskip(NEXT) | instid1(VALU_DEP_3)
	v_dual_fmac_f32 v47, 0x3e9e377a, v42 :: v_dual_add_f32 v34, v46, v27
	v_fmac_f32_e32 v48, 0x3e9e377a, v29
	s_delay_alu instid0(VALU_DEP_3) | instskip(SKIP_2) | instid1(VALU_DEP_2)
	v_fmac_f32_e32 v9, 0x3e9e377a, v29
	v_mul_f32_e32 v29, 0x3e9e377a, v40
	v_mul_f32_e32 v30, 0x3f4f1bbd, v39
	v_fma_f32 v29, 0x3f737871, v14, -v29
	s_delay_alu instid0(VALU_DEP_2) | instskip(SKIP_2) | instid1(VALU_DEP_3)
	v_fma_f32 v30, 0x3f167918, v36, -v30
	v_mul_f32_e32 v28, 0x3e9e377a, v44
	v_sub_f32_e32 v14, v46, v27
	v_dual_add_f32 v36, v9, v29 :: v_dual_add_f32 v37, v47, v30
	s_delay_alu instid0(VALU_DEP_3) | instskip(SKIP_2) | instid1(VALU_DEP_3)
	v_fmac_f32_e32 v28, 0x3f737871, v43
	v_sub_f32_e32 v33, v33, v15
	v_sub_f32_e32 v15, v9, v29
	v_dual_sub_f32 v9, v47, v30 :: v_dual_sub_f32 v16, v48, v28
	v_add_f32_e32 v35, v48, v28
	ds_store_2addr_b32 v24, v31, v34 offset1:40
	ds_store_2addr_b32 v24, v35, v36 offset0:80 offset1:120
	ds_store_2addr_b32 v24, v37, v33 offset0:160 offset1:200
	;; [unrolled: 1-line block ×4, first 2 shown]
	global_wb scope:SCOPE_SE
	s_wait_dscnt 0x0
	s_barrier_signal -1
	s_barrier_wait -1
	global_inv scope:SCOPE_SE
	ds_load_b32 v24, v0
	ds_load_b32 v25, v0 offset:1600
	ds_load_b32 v28, v0 offset:3200
	;; [unrolled: 1-line block ×5, first 2 shown]
	s_and_saveexec_b32 s1, s0
	s_cbranch_execz .LBB0_23
; %bb.22:
	ds_load_b32 v14, v0 offset:960
	ds_load_b32 v16, v0 offset:2560
	;; [unrolled: 1-line block ×6, first 2 shown]
.LBB0_23:
	s_wait_alu 0xfffe
	s_or_b32 exec_lo, exec_lo, s1
	s_and_saveexec_b32 s1, vcc_lo
	s_cbranch_execz .LBB0_26
; %bb.24:
	v_mul_u32_u24_e32 v0, 5, v32
	v_mul_lo_u32 v41, s2, v4
	v_mul_hi_u32 v42, 0x51eb851f, v32
	s_delay_alu instid0(VALU_DEP_3)
	v_lshlrev_b32_e32 v0, 3, v0
	s_clause 0x2
	global_load_b128 v[33:36], v0, s[4:5] offset:3168
	global_load_b128 v[37:40], v0, s[4:5] offset:3184
	global_load_b64 v[30:31], v0, s[4:5] offset:3200
	v_mul_lo_u32 v0, s3, v3
	v_mad_co_u64_u32 v[3:4], null, s2, v3, 0
	v_lshrrev_b32_e32 v42, 7, v42
	s_delay_alu instid0(VALU_DEP_1) | instskip(NEXT) | instid1(VALU_DEP_3)
	v_mul_u32_u24_e32 v43, 0x190, v42
	v_add3_u32 v4, v4, v41, v0
	v_lshlrev_b64_e32 v[41:42], 3, v[1:2]
	v_add_nc_u32_e32 v0, 0xf0, v32
	s_delay_alu instid0(VALU_DEP_4) | instskip(NEXT) | instid1(VALU_DEP_4)
	v_sub_nc_u32_e32 v1, v32, v43
	v_lshlrev_b64_e32 v[3:4], 3, v[3:4]
	s_delay_alu instid0(VALU_DEP_2) | instskip(NEXT) | instid1(VALU_DEP_2)
	v_lshlrev_b32_e32 v1, 3, v1
	v_add_co_u32 v2, vcc_lo, s10, v3
	s_wait_alu 0xfffd
	s_delay_alu instid0(VALU_DEP_3) | instskip(NEXT) | instid1(VALU_DEP_2)
	v_add_co_ci_u32_e32 v3, vcc_lo, s11, v4, vcc_lo
	v_add_co_u32 v2, vcc_lo, v2, v41
	s_wait_alu 0xfffd
	s_delay_alu instid0(VALU_DEP_2)
	v_add_co_ci_u32_e32 v3, vcc_lo, v3, v42, vcc_lo
	s_wait_loadcnt 0x1
	v_dual_mul_f32 v43, v21, v33 :: v_dual_mul_f32 v4, v19, v40
	s_wait_loadcnt 0x0
	v_mul_f32_e32 v45, v23, v30
	v_add_co_u32 v41, s1, v2, v1
	s_wait_dscnt 0x1
	v_mul_f32_e32 v40, v29, v40
	v_dual_mul_f32 v44, v22, v37 :: v_dual_mul_f32 v21, v21, v34
	s_wait_dscnt 0x0
	v_fmac_f32_e32 v45, v27, v31
	s_delay_alu instid0(VALU_DEP_3) | instskip(SKIP_2) | instid1(VALU_DEP_3)
	v_dual_mul_f32 v1, v18, v36 :: v_dual_fmac_f32 v40, v19, v39
	v_dual_mul_f32 v36, v28, v36 :: v_dual_mul_f32 v23, v23, v31
	v_fmac_f32_e32 v43, v25, v34
	v_fma_f32 v1, v28, v35, -v1
	v_fma_f32 v4, v29, v39, -v4
	s_delay_alu instid0(VALU_DEP_4) | instskip(SKIP_1) | instid1(VALU_DEP_4)
	v_fmac_f32_e32 v36, v18, v35
	v_mul_f32_e32 v22, v22, v38
	v_dual_fmac_f32 v44, v26, v38 :: v_dual_add_f32 v29, v24, v1
	v_fma_f32 v19, v27, v30, -v23
	s_delay_alu instid0(VALU_DEP_4) | instskip(NEXT) | instid1(VALU_DEP_4)
	v_sub_f32_e32 v23, v36, v40
	v_fma_f32 v18, v26, v37, -v22
	v_fma_f32 v21, v25, v33, -v21
	v_dual_add_f32 v22, v1, v4 :: v_dual_add_f32 v25, v44, v45
	s_delay_alu instid0(VALU_DEP_3) | instskip(SKIP_1) | instid1(VALU_DEP_4)
	v_dual_sub_f32 v28, v44, v45 :: v_dual_add_f32 v27, v18, v19
	v_dual_sub_f32 v26, v18, v19 :: v_dual_sub_f32 v1, v1, v4
	v_dual_add_f32 v18, v21, v18 :: v_dual_add_f32 v33, v43, v44
	v_add_f32_e32 v30, v36, v40
	v_fma_f32 v34, -0.5, v22, v24
	v_add_f32_e32 v31, v17, v36
	v_fma_f32 v24, -0.5, v25, v43
	v_fma_f32 v21, -0.5, v27, v21
	v_dual_add_f32 v4, v29, v4 :: v_dual_add_f32 v19, v18, v19
	v_fma_f32 v25, -0.5, v30, v17
	v_dual_add_f32 v29, v33, v45 :: v_dual_fmamk_f32 v30, v23, 0xbf5db3d7, v34
	v_dual_add_f32 v27, v31, v40 :: v_dual_fmac_f32 v34, 0x3f5db3d7, v23
	v_fmamk_f32 v31, v26, 0x3f5db3d7, v24
	v_fmamk_f32 v33, v28, 0xbf5db3d7, v21
	v_dual_fmac_f32 v21, 0x3f5db3d7, v28 :: v_dual_sub_f32 v18, v4, v19
	v_fmac_f32_e32 v24, 0xbf5db3d7, v26
	v_dual_fmamk_f32 v23, v1, 0x3f5db3d7, v25 :: v_dual_add_f32 v22, v4, v19
	s_delay_alu instid0(VALU_DEP_3)
	v_mul_f32_e32 v35, 0.5, v21
	v_mul_f32_e32 v19, 0xbf5db3d7, v21
	v_mul_f32_e32 v4, 0xbf5db3d7, v33
	v_cmp_gt_u32_e32 vcc_lo, 0x190, v0
	s_wait_alu 0xf1fe
	v_add_co_ci_u32_e64 v42, s1, 0, v3, s1
	v_fmac_f32_e32 v19, 0.5, v24
	v_fmac_f32_e32 v35, 0x3f5db3d7, v24
	v_dual_fmac_f32 v25, 0xbf5db3d7, v1 :: v_dual_fmac_f32 v4, -0.5, v31
	v_mul_f32_e32 v1, -0.5, v33
	v_add_f32_e32 v21, v27, v29
	s_delay_alu instid0(VALU_DEP_2) | instskip(NEXT) | instid1(VALU_DEP_1)
	v_fmac_f32_e32 v1, 0x3f5db3d7, v31
	v_sub_f32_e32 v24, v30, v1
	v_dual_sub_f32 v26, v34, v35 :: v_dual_sub_f32 v17, v27, v29
	v_dual_add_f32 v28, v30, v1 :: v_dual_add_f32 v29, v25, v19
	v_dual_add_f32 v30, v34, v35 :: v_dual_add_f32 v27, v23, v4
	v_sub_f32_e32 v25, v25, v19
	v_sub_f32_e32 v23, v23, v4
	s_clause 0x5
	global_store_b64 v[41:42], v[21:22], off
	global_store_b64 v[41:42], v[29:30], off offset:3200
	global_store_b64 v[41:42], v[27:28], off offset:6400
	;; [unrolled: 1-line block ×5, first 2 shown]
	s_and_b32 exec_lo, exec_lo, vcc_lo
	s_cbranch_execz .LBB0_26
; %bb.25:
	v_dual_mov_b32 v26, 0 :: v_dual_add_nc_u32 v1, 0xffffff60, v32
	s_delay_alu instid0(VALU_DEP_1) | instskip(NEXT) | instid1(VALU_DEP_1)
	v_cndmask_b32_e64 v1, v1, v20, s0
	v_mul_i32_i24_e32 v25, 5, v1
	s_delay_alu instid0(VALU_DEP_1) | instskip(NEXT) | instid1(VALU_DEP_1)
	v_lshlrev_b64_e32 v[17:18], 3, v[25:26]
	v_add_co_u32 v27, vcc_lo, s4, v17
	s_wait_alu 0xfffd
	s_delay_alu instid0(VALU_DEP_2)
	v_add_co_ci_u32_e32 v28, vcc_lo, s5, v18, vcc_lo
	s_clause 0x2
	global_load_b128 v[17:20], v[27:28], off offset:3168
	global_load_b128 v[21:24], v[27:28], off offset:3184
	global_load_b64 v[27:28], v[27:28], off offset:3200
	v_add_nc_u32_e32 v25, 0x280, v32
	v_mov_b32_e32 v1, v26
	s_delay_alu instid0(VALU_DEP_2) | instskip(SKIP_1) | instid1(VALU_DEP_1)
	v_lshlrev_b64_e32 v[29:30], 3, v[25:26]
	v_add_nc_u32_e32 v25, 0x410, v32
	v_lshlrev_b64_e32 v[33:34], 3, v[25:26]
	v_add_nc_u32_e32 v25, 0x5a0, v32
	s_delay_alu instid0(VALU_DEP_1) | instskip(SKIP_1) | instid1(VALU_DEP_1)
	v_lshlrev_b64_e32 v[35:36], 3, v[25:26]
	v_add_nc_u32_e32 v25, 0x730, v32
	v_lshlrev_b64_e32 v[37:38], 3, v[25:26]
	s_wait_loadcnt 0x2
	v_dual_mul_f32 v4, v13, v18 :: v_dual_add_nc_u32 v25, 0x8c0, v32
	v_lshlrev_b64_e32 v[0:1], 3, v[0:1]
	s_delay_alu instid0(VALU_DEP_1) | instskip(SKIP_1) | instid1(VALU_DEP_2)
	v_add_co_u32 v0, vcc_lo, v2, v0
	s_wait_alu 0xfffd
	v_add_co_ci_u32_e32 v1, vcc_lo, v3, v1, vcc_lo
	v_add_co_u32 v29, vcc_lo, v2, v29
	s_wait_alu 0xfffd
	v_add_co_ci_u32_e32 v30, vcc_lo, v3, v30, vcc_lo
	;; [unrolled: 3-line block ×5, first 2 shown]
	s_wait_loadcnt 0x0
	v_mul_f32_e32 v38, v8, v28
	s_delay_alu instid0(VALU_DEP_1) | instskip(SKIP_1) | instid1(VALU_DEP_1)
	v_fmac_f32_e32 v38, v6, v27
	v_lshlrev_b64_e32 v[25:26], 3, v[25:26]
	v_add_co_u32 v2, vcc_lo, v2, v25
	v_dual_mul_f32 v25, v16, v18 :: v_dual_mul_f32 v18, v15, v20
	v_mul_f32_e32 v20, v11, v20
	s_wait_alu 0xfffd
	s_delay_alu instid0(VALU_DEP_4) | instskip(NEXT) | instid1(VALU_DEP_3)
	v_add_co_ci_u32_e32 v3, vcc_lo, v3, v26, vcc_lo
	v_fmac_f32_e32 v25, v13, v17
	v_fma_f32 v13, v16, v17, -v4
	v_fmac_f32_e32 v18, v11, v19
	v_fma_f32 v4, v15, v19, -v20
	v_mul_f32_e32 v37, v7, v24
	v_mul_f32_e32 v24, v5, v24
	;; [unrolled: 1-line block ×3, first 2 shown]
	s_delay_alu instid0(VALU_DEP_3) | instskip(NEXT) | instid1(VALU_DEP_3)
	v_dual_mul_f32 v22, v12, v22 :: v_dual_fmac_f32 v37, v5, v23
	v_fma_f32 v5, v7, v23, -v24
	v_add_f32_e32 v7, v10, v18
	v_mul_f32_e32 v28, v6, v28
	s_delay_alu instid0(VALU_DEP_4) | instskip(SKIP_2) | instid1(VALU_DEP_4)
	v_fma_f32 v9, v9, v21, -v22
	v_fmac_f32_e32 v26, v12, v21
	v_dual_sub_f32 v11, v4, v5 :: v_dual_add_f32 v12, v14, v4
	v_fma_f32 v6, v8, v27, -v28
	s_delay_alu instid0(VALU_DEP_4)
	v_add_f32_e32 v19, v13, v9
	v_add_f32_e32 v8, v18, v37
	;; [unrolled: 1-line block ×3, first 2 shown]
	v_dual_sub_f32 v15, v18, v37 :: v_dual_add_f32 v16, v25, v26
	v_dual_sub_f32 v18, v9, v6 :: v_dual_add_f32 v7, v7, v37
	v_add_f32_e32 v9, v9, v6
	v_dual_add_f32 v17, v26, v38 :: v_dual_fmac_f32 v10, -0.5, v8
	v_sub_f32_e32 v20, v26, v38
	s_delay_alu instid0(VALU_DEP_3) | instskip(SKIP_1) | instid1(VALU_DEP_4)
	v_dual_fmac_f32 v14, -0.5, v4 :: v_dual_fmac_f32 v13, -0.5, v9
	v_add_f32_e32 v8, v12, v5
	v_dual_add_f32 v12, v16, v38 :: v_dual_fmac_f32 v25, -0.5, v17
	v_add_f32_e32 v16, v19, v6
	s_delay_alu instid0(VALU_DEP_4)
	v_fmamk_f32 v19, v15, 0x3f5db3d7, v14
	v_fmac_f32_e32 v14, 0xbf5db3d7, v15
	v_fmamk_f32 v6, v20, 0x3f5db3d7, v13
	v_fmac_f32_e32 v13, 0xbf5db3d7, v20
	;; [unrolled: 2-line block ×4, first 2 shown]
	v_dual_add_f32 v5, v8, v16 :: v_dual_mul_f32 v18, 0xbf5db3d7, v13
	v_dual_mul_f32 v21, -0.5, v13 :: v_dual_add_f32 v4, v7, v12
	v_mul_f32_e32 v15, 0xbf5db3d7, v6
	v_mul_f32_e32 v20, 0.5, v6
	s_delay_alu instid0(VALU_DEP_3) | instskip(SKIP_1) | instid1(VALU_DEP_4)
	v_dual_sub_f32 v6, v7, v12 :: v_dual_fmac_f32 v21, 0x3f5db3d7, v25
	v_dual_fmac_f32 v18, -0.5, v25 :: v_dual_sub_f32 v7, v8, v16
	v_fmac_f32_e32 v15, 0.5, v9
	s_delay_alu instid0(VALU_DEP_4) | instskip(NEXT) | instid1(VALU_DEP_4)
	v_fmac_f32_e32 v20, 0x3f5db3d7, v9
	v_add_f32_e32 v12, v14, v21
	s_delay_alu instid0(VALU_DEP_4) | instskip(NEXT) | instid1(VALU_DEP_4)
	v_add_f32_e32 v11, v10, v18
	v_dual_sub_f32 v13, v10, v18 :: v_dual_add_f32 v8, v17, v15
	s_delay_alu instid0(VALU_DEP_4)
	v_add_f32_e32 v9, v19, v20
	v_dual_sub_f32 v15, v17, v15 :: v_dual_sub_f32 v16, v19, v20
	v_sub_f32_e32 v14, v14, v21
	s_clause 0x5
	global_store_b64 v[0:1], v[4:5], off
	global_store_b64 v[29:30], v[8:9], off
	;; [unrolled: 1-line block ×6, first 2 shown]
.LBB0_26:
	s_nop 0
	s_sendmsg sendmsg(MSG_DEALLOC_VGPRS)
	s_endpgm
	.section	.rodata,"a",@progbits
	.p2align	6, 0x0
	.amdhsa_kernel fft_rtc_back_len2400_factors_4_10_10_6_wgs_240_tpt_240_halfLds_sp_op_CI_CI_unitstride_sbrr_dirReg
		.amdhsa_group_segment_fixed_size 0
		.amdhsa_private_segment_fixed_size 0
		.amdhsa_kernarg_size 104
		.amdhsa_user_sgpr_count 2
		.amdhsa_user_sgpr_dispatch_ptr 0
		.amdhsa_user_sgpr_queue_ptr 0
		.amdhsa_user_sgpr_kernarg_segment_ptr 1
		.amdhsa_user_sgpr_dispatch_id 0
		.amdhsa_user_sgpr_private_segment_size 0
		.amdhsa_wavefront_size32 1
		.amdhsa_uses_dynamic_stack 0
		.amdhsa_enable_private_segment 0
		.amdhsa_system_sgpr_workgroup_id_x 1
		.amdhsa_system_sgpr_workgroup_id_y 0
		.amdhsa_system_sgpr_workgroup_id_z 0
		.amdhsa_system_sgpr_workgroup_info 0
		.amdhsa_system_vgpr_workitem_id 0
		.amdhsa_next_free_vgpr 71
		.amdhsa_next_free_sgpr 39
		.amdhsa_reserve_vcc 1
		.amdhsa_float_round_mode_32 0
		.amdhsa_float_round_mode_16_64 0
		.amdhsa_float_denorm_mode_32 3
		.amdhsa_float_denorm_mode_16_64 3
		.amdhsa_fp16_overflow 0
		.amdhsa_workgroup_processor_mode 1
		.amdhsa_memory_ordered 1
		.amdhsa_forward_progress 0
		.amdhsa_round_robin_scheduling 0
		.amdhsa_exception_fp_ieee_invalid_op 0
		.amdhsa_exception_fp_denorm_src 0
		.amdhsa_exception_fp_ieee_div_zero 0
		.amdhsa_exception_fp_ieee_overflow 0
		.amdhsa_exception_fp_ieee_underflow 0
		.amdhsa_exception_fp_ieee_inexact 0
		.amdhsa_exception_int_div_zero 0
	.end_amdhsa_kernel
	.text
.Lfunc_end0:
	.size	fft_rtc_back_len2400_factors_4_10_10_6_wgs_240_tpt_240_halfLds_sp_op_CI_CI_unitstride_sbrr_dirReg, .Lfunc_end0-fft_rtc_back_len2400_factors_4_10_10_6_wgs_240_tpt_240_halfLds_sp_op_CI_CI_unitstride_sbrr_dirReg
                                        ; -- End function
	.section	.AMDGPU.csdata,"",@progbits
; Kernel info:
; codeLenInByte = 7140
; NumSgprs: 41
; NumVgprs: 71
; ScratchSize: 0
; MemoryBound: 0
; FloatMode: 240
; IeeeMode: 1
; LDSByteSize: 0 bytes/workgroup (compile time only)
; SGPRBlocks: 5
; VGPRBlocks: 8
; NumSGPRsForWavesPerEU: 41
; NumVGPRsForWavesPerEU: 71
; Occupancy: 16
; WaveLimiterHint : 1
; COMPUTE_PGM_RSRC2:SCRATCH_EN: 0
; COMPUTE_PGM_RSRC2:USER_SGPR: 2
; COMPUTE_PGM_RSRC2:TRAP_HANDLER: 0
; COMPUTE_PGM_RSRC2:TGID_X_EN: 1
; COMPUTE_PGM_RSRC2:TGID_Y_EN: 0
; COMPUTE_PGM_RSRC2:TGID_Z_EN: 0
; COMPUTE_PGM_RSRC2:TIDIG_COMP_CNT: 0
	.text
	.p2alignl 7, 3214868480
	.fill 96, 4, 3214868480
	.type	__hip_cuid_b8d7af5f5bbe363c,@object ; @__hip_cuid_b8d7af5f5bbe363c
	.section	.bss,"aw",@nobits
	.globl	__hip_cuid_b8d7af5f5bbe363c
__hip_cuid_b8d7af5f5bbe363c:
	.byte	0                               ; 0x0
	.size	__hip_cuid_b8d7af5f5bbe363c, 1

	.ident	"AMD clang version 19.0.0git (https://github.com/RadeonOpenCompute/llvm-project roc-6.4.0 25133 c7fe45cf4b819c5991fe208aaa96edf142730f1d)"
	.section	".note.GNU-stack","",@progbits
	.addrsig
	.addrsig_sym __hip_cuid_b8d7af5f5bbe363c
	.amdgpu_metadata
---
amdhsa.kernels:
  - .args:
      - .actual_access:  read_only
        .address_space:  global
        .offset:         0
        .size:           8
        .value_kind:     global_buffer
      - .offset:         8
        .size:           8
        .value_kind:     by_value
      - .actual_access:  read_only
        .address_space:  global
        .offset:         16
        .size:           8
        .value_kind:     global_buffer
      - .actual_access:  read_only
        .address_space:  global
        .offset:         24
        .size:           8
        .value_kind:     global_buffer
      - .actual_access:  read_only
        .address_space:  global
        .offset:         32
        .size:           8
        .value_kind:     global_buffer
      - .offset:         40
        .size:           8
        .value_kind:     by_value
      - .actual_access:  read_only
        .address_space:  global
        .offset:         48
        .size:           8
        .value_kind:     global_buffer
      - .actual_access:  read_only
        .address_space:  global
        .offset:         56
        .size:           8
        .value_kind:     global_buffer
      - .offset:         64
        .size:           4
        .value_kind:     by_value
      - .actual_access:  read_only
        .address_space:  global
        .offset:         72
        .size:           8
        .value_kind:     global_buffer
      - .actual_access:  read_only
        .address_space:  global
        .offset:         80
        .size:           8
        .value_kind:     global_buffer
      - .actual_access:  read_only
        .address_space:  global
        .offset:         88
        .size:           8
        .value_kind:     global_buffer
      - .actual_access:  write_only
        .address_space:  global
        .offset:         96
        .size:           8
        .value_kind:     global_buffer
    .group_segment_fixed_size: 0
    .kernarg_segment_align: 8
    .kernarg_segment_size: 104
    .language:       OpenCL C
    .language_version:
      - 2
      - 0
    .max_flat_workgroup_size: 240
    .name:           fft_rtc_back_len2400_factors_4_10_10_6_wgs_240_tpt_240_halfLds_sp_op_CI_CI_unitstride_sbrr_dirReg
    .private_segment_fixed_size: 0
    .sgpr_count:     41
    .sgpr_spill_count: 0
    .symbol:         fft_rtc_back_len2400_factors_4_10_10_6_wgs_240_tpt_240_halfLds_sp_op_CI_CI_unitstride_sbrr_dirReg.kd
    .uniform_work_group_size: 1
    .uses_dynamic_stack: false
    .vgpr_count:     71
    .vgpr_spill_count: 0
    .wavefront_size: 32
    .workgroup_processor_mode: 1
amdhsa.target:   amdgcn-amd-amdhsa--gfx1201
amdhsa.version:
  - 1
  - 2
...

	.end_amdgpu_metadata
